;; amdgpu-corpus repo=ROCm/rocFFT kind=compiled arch=gfx1030 opt=O3
	.text
	.amdgcn_target "amdgcn-amd-amdhsa--gfx1030"
	.amdhsa_code_object_version 6
	.protected	bluestein_single_fwd_len539_dim1_sp_op_CI_CI ; -- Begin function bluestein_single_fwd_len539_dim1_sp_op_CI_CI
	.globl	bluestein_single_fwd_len539_dim1_sp_op_CI_CI
	.p2align	8
	.type	bluestein_single_fwd_len539_dim1_sp_op_CI_CI,@function
bluestein_single_fwd_len539_dim1_sp_op_CI_CI: ; @bluestein_single_fwd_len539_dim1_sp_op_CI_CI
; %bb.0:
	s_load_dwordx4 s[0:3], s[4:5], 0x28
	v_mul_u32_u24_e32 v1, 0x354, v0
	v_lshrrev_b32_e32 v1, 16, v1
	v_mad_u64_u32 v[44:45], null, s6, 3, v[1:2]
	v_mov_b32_e32 v45, 0
	s_waitcnt lgkmcnt(0)
	v_cmp_gt_u64_e32 vcc_lo, s[0:1], v[44:45]
	s_and_saveexec_b32 s0, vcc_lo
	s_cbranch_execz .LBB0_15
; %bb.1:
	v_mul_hi_u32 v2, 0xaaaaaaab, v44
	s_clause 0x1
	s_load_dwordx2 s[14:15], s[4:5], 0x0
	s_load_dwordx2 s[12:13], s[4:5], 0x38
	v_mul_lo_u16 v1, 0x4d, v1
	v_sub_nc_u16 v0, v0, v1
	v_lshrrev_b32_e32 v2, 1, v2
	v_and_b32_e32 v47, 0xffff, v0
	v_lshl_add_u32 v2, v2, 1, v2
	v_cmp_gt_u16_e32 vcc_lo, 49, v0
	v_lshlrev_b32_e32 v48, 3, v47
	v_sub_nc_u32_e32 v1, v44, v2
	v_mul_u32_u24_e32 v28, 0x21b, v1
	v_lshlrev_b32_e32 v49, 3, v28
	s_and_saveexec_b32 s1, vcc_lo
	s_cbranch_execz .LBB0_3
; %bb.2:
	s_load_dwordx2 s[6:7], s[4:5], 0x18
	s_waitcnt lgkmcnt(0)
	v_add_co_u32 v16, s0, s14, v48
	v_add_co_ci_u32_e64 v17, null, s15, 0, s0
	v_add_nc_u32_e32 v43, v49, v48
	v_lshl_add_u32 v52, v47, 3, v49
	v_add_nc_u32_e32 v53, 0x400, v43
	v_add_nc_u32_e32 v54, 0x800, v43
	s_load_dwordx4 s[8:11], s[6:7], 0x0
	s_waitcnt lgkmcnt(0)
	v_mad_u64_u32 v[0:1], null, s10, v44, 0
	v_mad_u64_u32 v[2:3], null, s8, v47, 0
	s_mul_i32 s6, s9, 0x188
	s_mul_hi_u32 s7, s8, 0x188
	s_add_i32 s7, s7, s6
	v_mad_u64_u32 v[4:5], null, s11, v44, v[1:2]
	v_mad_u64_u32 v[5:6], null, s9, v47, v[3:4]
	v_mov_b32_e32 v1, v4
	s_clause 0x3
	global_load_dwordx2 v[6:7], v48, s[14:15]
	global_load_dwordx2 v[8:9], v48, s[14:15] offset:392
	global_load_dwordx2 v[10:11], v48, s[14:15] offset:784
	;; [unrolled: 1-line block ×3, first 2 shown]
	v_lshlrev_b64 v[0:1], 3, v[0:1]
	v_mov_b32_e32 v3, v5
	s_clause 0x1
	global_load_dwordx2 v[4:5], v48, s[14:15] offset:1568
	global_load_dwordx2 v[14:15], v48, s[14:15] offset:1960
	v_add_co_u32 v0, s0, s2, v0
	v_lshlrev_b64 v[2:3], 3, v[2:3]
	v_add_co_ci_u32_e64 v1, s0, s3, v1, s0
	s_mul_i32 s2, s8, 0x188
	v_add_co_u32 v0, s0, v0, v2
	v_add_co_ci_u32_e64 v1, s0, v1, v3, s0
	v_add_co_u32 v2, s0, v0, s2
	v_add_co_ci_u32_e64 v3, s0, s7, v1, s0
	;; [unrolled: 2-line block ×4, first 2 shown]
	global_load_dwordx2 v[0:1], v[0:1], off
	v_add_co_u32 v20, s0, v18, s2
	v_add_co_ci_u32_e64 v21, s0, s7, v19, s0
	s_clause 0x2
	global_load_dwordx2 v[22:23], v[16:17], off offset:304
	global_load_dwordx2 v[24:25], v[16:17], off offset:696
	;; [unrolled: 1-line block ×3, first 2 shown]
	v_add_co_u32 v29, s0, v20, s2
	v_add_co_ci_u32_e64 v30, s0, s7, v21, s0
	s_clause 0x2
	global_load_dwordx2 v[2:3], v[2:3], off
	global_load_dwordx2 v[18:19], v[18:19], off
	global_load_dwordx2 v[20:21], v[20:21], off
	v_add_co_u32 v31, s0, v29, s2
	v_add_co_ci_u32_e64 v32, s0, s7, v30, s0
	global_load_dwordx2 v[29:30], v[29:30], off
	v_add_co_u32 v33, s0, v31, s2
	v_add_co_ci_u32_e64 v34, s0, s7, v32, s0
	global_load_dwordx2 v[31:32], v[31:32], off
	;; [unrolled: 3-line block ×5, first 2 shown]
	v_add_co_u32 v41, s0, v39, s2
	v_add_co_ci_u32_e64 v42, s0, s7, v40, s0
	global_load_dwordx2 v[45:46], v[16:17], off offset:1480
	global_load_dwordx2 v[39:40], v[39:40], off
	global_load_dwordx2 v[16:17], v[16:17], off offset:1872
	global_load_dwordx2 v[41:42], v[41:42], off
	s_waitcnt vmcnt(15)
	v_mul_f32_e32 v50, v1, v7
	v_mul_f32_e32 v7, v0, v7
	v_fmac_f32_e32 v50, v0, v6
	v_fma_f32 v51, v1, v6, -v7
	s_waitcnt vmcnt(11)
	v_mul_f32_e32 v0, v3, v9
	v_mul_f32_e32 v1, v2, v9
	s_waitcnt vmcnt(10)
	v_mul_f32_e32 v6, v19, v11
	v_mul_f32_e32 v7, v18, v11
	ds_write_b64 v52, v[50:51]
	v_fmac_f32_e32 v0, v2, v8
	v_fma_f32 v1, v3, v8, -v1
	s_waitcnt vmcnt(8)
	v_mul_f32_e32 v8, v30, v5
	v_mul_f32_e32 v5, v29, v5
	v_mul_f32_e32 v2, v21, v13
	v_fmac_f32_e32 v6, v18, v10
	v_fma_f32 v7, v19, v10, -v7
	v_mul_f32_e32 v3, v20, v13
	s_waitcnt vmcnt(7)
	v_mul_f32_e32 v10, v32, v15
	v_mul_f32_e32 v11, v31, v15
	v_fmac_f32_e32 v8, v29, v4
	v_fma_f32 v9, v30, v4, -v5
	s_waitcnt vmcnt(6)
	v_mul_f32_e32 v4, v34, v23
	v_mul_f32_e32 v5, v33, v23
	v_fmac_f32_e32 v2, v20, v12
	v_fma_f32 v3, v21, v12, -v3
	v_fmac_f32_e32 v10, v31, v14
	v_fma_f32 v11, v32, v14, -v11
	s_waitcnt vmcnt(5)
	v_mul_f32_e32 v12, v36, v25
	v_mul_f32_e32 v13, v35, v25
	v_fmac_f32_e32 v4, v33, v22
	v_fma_f32 v5, v34, v22, -v5
	s_waitcnt vmcnt(4)
	v_mul_f32_e32 v14, v38, v27
	v_mul_f32_e32 v15, v37, v27
	v_fmac_f32_e32 v12, v35, v24
	s_waitcnt vmcnt(2)
	v_mul_f32_e32 v18, v40, v46
	v_mul_f32_e32 v19, v39, v46
	s_waitcnt vmcnt(0)
	v_mul_f32_e32 v20, v42, v17
	v_mul_f32_e32 v17, v41, v17
	v_fma_f32 v13, v36, v24, -v13
	v_fmac_f32_e32 v14, v37, v26
	v_fma_f32 v15, v38, v26, -v15
	v_fmac_f32_e32 v18, v39, v45
	v_fma_f32 v19, v40, v45, -v19
	v_fmac_f32_e32 v20, v41, v16
	v_fma_f32 v21, v42, v16, -v17
	ds_write2_b64 v43, v[0:1], v[6:7] offset0:49 offset1:98
	ds_write2_b64 v43, v[2:3], v[8:9] offset0:147 offset1:196
	;; [unrolled: 1-line block ×5, first 2 shown]
.LBB0_3:
	s_or_b32 exec_lo, exec_lo, s1
	s_clause 0x1
	s_load_dwordx2 s[2:3], s[4:5], 0x20
	s_load_dwordx2 s[0:1], s[4:5], 0x8
	v_mov_b32_e32 v8, 0
	v_mov_b32_e32 v9, 0
	s_waitcnt lgkmcnt(0)
	s_barrier
	buffer_gl0_inv
                                        ; implicit-def: $vgpr16
                                        ; implicit-def: $vgpr12
                                        ; implicit-def: $vgpr4
                                        ; implicit-def: $vgpr22
                                        ; implicit-def: $vgpr26
	s_and_saveexec_b32 s4, vcc_lo
	s_cbranch_execz .LBB0_5
; %bb.4:
	v_lshl_add_u32 v0, v28, 3, v48
	v_add_nc_u32_e32 v1, 0x800, v0
	ds_read2_b64 v[8:11], v0 offset1:49
	ds_read2_b64 v[24:27], v0 offset0:98 offset1:147
	ds_read2_b64 v[20:23], v0 offset0:196 offset1:245
	ds_read2_b64 v[16:19], v1 offset0:38 offset1:87
	ds_read2_b64 v[12:15], v1 offset0:136 offset1:185
	ds_read_b64 v[4:5], v0 offset:3920
.LBB0_5:
	s_or_b32 exec_lo, exec_lo, s4
	s_waitcnt lgkmcnt(0)
	v_sub_f32_e32 v59, v10, v4
	v_sub_f32_e32 v57, v11, v5
	v_add_f32_e32 v30, v5, v11
	v_sub_f32_e32 v64, v24, v14
	v_add_f32_e32 v29, v4, v10
	v_mul_f32_e32 v36, 0xbf0a6770, v59
	v_mul_f32_e32 v35, 0xbf0a6770, v57
	v_sub_f32_e32 v62, v25, v15
	v_add_f32_e32 v32, v15, v25
	v_mul_f32_e32 v39, 0xbf68dda4, v64
	v_fma_f32 v1, 0x3f575c64, v30, -v36
	v_sub_f32_e32 v70, v26, v12
	v_add_f32_e32 v31, v14, v24
	v_fmamk_f32 v0, v29, 0x3f575c64, v35
	v_mul_f32_e32 v38, 0xbf68dda4, v62
	v_add_f32_e32 v1, v1, v9
	v_sub_f32_e32 v69, v27, v13
	v_fma_f32 v3, 0x3ed4b147, v32, -v39
	v_add_f32_e32 v34, v13, v27
	v_mul_f32_e32 v43, 0xbf7d64f0, v70
	v_sub_f32_e32 v75, v20, v18
	v_add_f32_e32 v0, v0, v8
	v_fmamk_f32 v2, v31, 0x3ed4b147, v38
	v_add_f32_e32 v33, v12, v26
	v_mul_f32_e32 v41, 0xbf7d64f0, v69
	v_add_f32_e32 v1, v3, v1
	v_sub_f32_e32 v73, v21, v19
	v_fma_f32 v3, 0xbe11bafb, v34, -v43
	v_add_f32_e32 v40, v19, v21
	v_mul_f32_e32 v53, 0xbf4178ce, v75
	v_mul_f32_e32 v54, 0xbf68dda4, v57
	v_add_f32_e32 v0, v2, v0
	v_fmamk_f32 v2, v33, 0xbe11bafb, v41
	v_add_f32_e32 v37, v18, v20
	v_mul_f32_e32 v52, 0xbf4178ce, v73
	v_add_f32_e32 v1, v3, v1
	v_sub_f32_e32 v79, v23, v17
	v_fma_f32 v3, 0xbf27a4f4, v40, -v53
	v_mul_f32_e32 v65, 0xbf68dda4, v59
	v_add_f32_e32 v0, v2, v0
	v_fmamk_f32 v2, v37, 0xbf27a4f4, v52
	v_sub_f32_e32 v80, v22, v16
	v_add_f32_e32 v42, v16, v22
	v_mul_f32_e32 v55, 0xbe903f40, v79
	v_fmamk_f32 v6, v29, 0x3ed4b147, v54
	v_add_f32_e32 v1, v3, v1
	v_mul_f32_e32 v58, 0xbf4178ce, v62
	v_fma_f32 v3, 0x3ed4b147, v30, -v65
	v_mul_f32_e32 v67, 0xbf4178ce, v64
	v_add_f32_e32 v51, v17, v23
	v_mul_f32_e32 v56, 0xbe903f40, v80
	v_add_f32_e32 v0, v2, v0
	v_fmamk_f32 v2, v42, 0xbf75a155, v55
	v_add_f32_e32 v6, v6, v8
	v_fmamk_f32 v46, v31, 0xbf27a4f4, v58
	v_add_f32_e32 v3, v3, v9
	v_mul_f32_e32 v61, 0x3e903f40, v69
	v_fma_f32 v50, 0xbf27a4f4, v32, -v67
	v_mul_f32_e32 v66, 0x3e903f40, v70
	v_fma_f32 v7, 0xbf75a155, v51, -v56
	v_add_f32_e32 v45, v2, v0
	v_add_f32_e32 v0, v46, v6
	v_fmamk_f32 v2, v33, 0xbf75a155, v61
	v_add_f32_e32 v3, v50, v3
	v_fma_f32 v6, 0xbf75a155, v34, -v66
	v_mul_f32_e32 v63, 0x3f7d64f0, v73
	v_mul_f32_e32 v68, 0x3f7d64f0, v75
	;; [unrolled: 1-line block ×3, first 2 shown]
	v_add_f32_e32 v0, v2, v0
	v_add_f32_e32 v2, v6, v3
	v_fmamk_f32 v3, v37, 0xbe11bafb, v63
	v_fma_f32 v6, 0xbe11bafb, v40, -v68
	v_add_f32_e32 v46, v7, v1
	v_fmamk_f32 v1, v29, 0xbe11bafb, v77
	v_mul_f32_e32 v74, 0x3e903f40, v62
	v_mul_f32_e32 v81, 0xbf7d64f0, v59
	v_add_f32_e32 v0, v3, v0
	v_add_f32_e32 v3, v6, v2
	v_mul_f32_e32 v60, 0x3f0a6770, v79
	v_add_f32_e32 v1, v1, v8
	v_fmamk_f32 v2, v31, 0xbf75a155, v74
	v_mul_f32_e32 v72, 0x3f68dda4, v69
	v_fma_f32 v7, 0xbe11bafb, v30, -v81
	v_mul_f32_e32 v83, 0x3e903f40, v64
	v_fmamk_f32 v6, v42, 0x3f575c64, v60
	v_add_f32_e32 v1, v2, v1
	v_fmamk_f32 v2, v33, 0x3ed4b147, v72
	v_mul_f32_e32 v76, 0xbf0a6770, v73
	v_add_f32_e32 v7, v7, v9
	v_fma_f32 v84, 0xbf75a155, v32, -v83
	v_mul_f32_e32 v82, 0x3f68dda4, v70
	v_add_f32_e32 v1, v2, v1
	v_fmamk_f32 v85, v37, 0x3f575c64, v76
	v_add_f32_e32 v2, v6, v0
	v_add_f32_e32 v0, v84, v7
	v_fma_f32 v6, 0x3ed4b147, v34, -v82
	v_mul_f32_e32 v87, 0xbf4178ce, v57
	v_mul_f32_e32 v93, 0xbf4178ce, v59
	v_add_f32_e32 v1, v85, v1
	v_mul_f32_e32 v85, 0xbf0a6770, v75
	v_add_f32_e32 v0, v6, v0
	v_fmamk_f32 v6, v29, 0xbf27a4f4, v87
	v_mul_f32_e32 v90, 0x3f7d64f0, v62
	v_fma_f32 v84, 0xbf27a4f4, v30, -v93
	v_mul_f32_e32 v94, 0x3f7d64f0, v64
	v_fma_f32 v88, 0x3f575c64, v40, -v85
	v_add_f32_e32 v6, v6, v8
	v_fmamk_f32 v89, v31, 0xbe11bafb, v90
	v_add_f32_e32 v84, v84, v9
	v_fma_f32 v91, 0xbe11bafb, v32, -v94
	v_mul_f32_e32 v86, 0xbf0a6770, v69
	v_mul_f32_e32 v95, 0xbf0a6770, v70
	v_add_f32_e32 v96, v88, v0
	v_add_f32_e32 v0, v89, v6
	;; [unrolled: 1-line block ×3, first 2 shown]
	v_fmamk_f32 v89, v33, 0x3f575c64, v86
	v_fma_f32 v92, 0x3f575c64, v34, -v95
	v_mul_f32_e32 v88, 0xbe903f40, v73
	v_mul_f32_e32 v91, 0xbe903f40, v75
	;; [unrolled: 1-line block ×5, first 2 shown]
	v_add_f32_e32 v0, v89, v0
	v_add_f32_e32 v6, v92, v6
	v_fmamk_f32 v97, v37, 0xbf75a155, v88
	v_fma_f32 v98, 0xbf75a155, v40, -v91
	v_mul_f32_e32 v89, 0x3f68dda4, v79
	v_mul_f32_e32 v92, 0x3f68dda4, v80
	v_fma_f32 v50, 0x3f575c64, v51, -v71
	v_fmamk_f32 v7, v42, 0xbf27a4f4, v78
	v_fma_f32 v99, 0xbf27a4f4, v51, -v84
	v_add_f32_e32 v97, v97, v0
	v_add_f32_e32 v98, v98, v6
	v_fmamk_f32 v6, v42, 0x3ed4b147, v89
	v_fma_f32 v100, 0x3ed4b147, v51, -v92
	v_add_f32_e32 v3, v50, v3
	v_add_f32_e32 v0, v7, v1
	;; [unrolled: 1-line block ×5, first 2 shown]
	v_mul_lo_u16 v50, v47, 11
	s_barrier
	buffer_gl0_inv
	s_and_saveexec_b32 s4, vcc_lo
	s_cbranch_execz .LBB0_7
; %bb.6:
	v_mul_f32_e32 v59, 0xbe903f40, v59
	v_mul_f32_e32 v102, 0xbe903f40, v57
	;; [unrolled: 1-line block ×5, first 2 shown]
	v_fmamk_f32 v103, v30, 0xbf75a155, v59
	v_fma_f32 v105, 0xbf75a155, v29, -v102
	v_fmamk_f32 v106, v32, 0x3f575c64, v64
	v_mul_f32_e32 v108, 0xbf4178ce, v69
	v_mul_f32_e32 v104, 0xbf27a4f4, v30
	v_add_f32_e32 v103, v103, v9
	v_add_f32_e32 v70, v105, v8
	v_fma_f32 v105, 0x3f575c64, v31, -v62
	v_mul_f32_e32 v75, 0x3f68dda4, v75
	v_mul_f32_e32 v73, 0x3f68dda4, v73
	v_add_f32_e32 v69, v106, v103
	v_fmamk_f32 v103, v34, 0xbf27a4f4, v107
	v_add_f32_e32 v70, v105, v70
	v_fma_f32 v105, 0xbf27a4f4, v33, -v108
	v_add_f32_e32 v93, v93, v104
	v_fmamk_f32 v104, v40, 0x3ed4b147, v75
	v_add_f32_e32 v69, v103, v69
	v_mul_f32_e32 v103, 0xbe11bafb, v32
	v_add_f32_e32 v70, v105, v70
	v_mul_f32_e32 v110, 0xbf7d64f0, v80
	v_mul_f32_e32 v105, 0x3f575c64, v34
	v_add_f32_e32 v69, v104, v69
	v_add_f32_e32 v80, v94, v103
	v_fma_f32 v94, 0x3ed4b147, v37, -v73
	v_mul_f32_e32 v103, 0xbf7d64f0, v79
	v_add_f32_e32 v79, v93, v9
	v_fmamk_f32 v93, v51, 0xbe11bafb, v110
	v_mul_f32_e32 v57, 0xbf27a4f4, v29
	v_add_f32_e32 v94, v94, v70
	v_fma_f32 v104, 0xbe11bafb, v42, -v103
	v_add_f32_e32 v79, v80, v79
	v_add_f32_e32 v80, v95, v105
	;; [unrolled: 1-line block ×3, first 2 shown]
	v_sub_f32_e32 v57, v57, v87
	v_add_f32_e32 v69, v104, v94
	v_mul_f32_e32 v94, 0xbf75a155, v40
	v_add_f32_e32 v79, v80, v79
	v_mul_f32_e32 v80, 0xbe11bafb, v31
	v_add_f32_e32 v57, v57, v8
	v_mul_f32_e32 v100, 0xbe11bafb, v29
	v_add_f32_e32 v91, v91, v94
	v_mul_f32_e32 v94, 0x3ed4b147, v51
	v_sub_f32_e32 v80, v80, v90
	v_mul_f32_e32 v101, 0xbe11bafb, v30
	v_mul_f32_e32 v99, 0x3ed4b147, v30
	;; [unrolled: 1-line block ×3, first 2 shown]
	v_add_f32_e32 v92, v92, v94
	v_mul_f32_e32 v94, 0x3f575c64, v33
	v_add_f32_e32 v57, v80, v57
	v_mul_f32_e32 v87, 0xbf75a155, v32
	v_add_f32_e32 v80, v81, v101
	v_sub_f32_e32 v77, v100, v77
	v_sub_f32_e32 v86, v94, v86
	v_mul_f32_e32 v94, 0xbf75a155, v37
	v_mul_f32_e32 v98, 0x3ed4b147, v29
	;; [unrolled: 1-line block ×3, first 2 shown]
	v_add_f32_e32 v83, v83, v87
	v_add_f32_e32 v57, v86, v57
	v_sub_f32_e32 v88, v94, v88
	v_mul_f32_e32 v87, 0x3ed4b147, v33
	v_add_f32_e32 v80, v80, v9
	v_mul_f32_e32 v86, 0x3ed4b147, v34
	v_add_f32_e32 v65, v65, v99
	v_add_f32_e32 v57, v88, v57
	v_mul_f32_e32 v88, 0x3f575c64, v40
	v_sub_f32_e32 v74, v93, v74
	v_add_f32_e32 v77, v77, v8
	v_mul_f32_e32 v111, 0xbf27a4f4, v31
	v_mul_f32_e32 v81, 0xbf75a155, v34
	v_add_f32_e32 v80, v83, v80
	v_mul_f32_e32 v83, 0x3ed4b147, v42
	v_add_f32_e32 v82, v82, v86
	v_add_f32_e32 v85, v85, v88
	v_mul_f32_e32 v88, 0x3f575c64, v37
	v_add_f32_e32 v65, v65, v9
	v_add_f32_e32 v67, v67, v95
	v_sub_f32_e32 v54, v98, v54
	v_add_f32_e32 v74, v74, v77
	v_sub_f32_e32 v72, v87, v72
	v_mul_f32_e32 v97, 0x3f575c64, v30
	v_add_f32_e32 v79, v91, v79
	v_mul_f32_e32 v104, 0xbf75a155, v33
	v_sub_f32_e32 v83, v83, v89
	v_add_f32_e32 v82, v82, v80
	v_mul_f32_e32 v101, 0xbe11bafb, v40
	v_mul_f32_e32 v99, 0xbf27a4f4, v51
	;; [unrolled: 1-line block ×3, first 2 shown]
	v_add_f32_e32 v65, v67, v65
	v_add_f32_e32 v66, v66, v81
	v_add_f32_e32 v54, v54, v8
	v_sub_f32_e32 v58, v111, v58
	v_add_f32_e32 v67, v72, v74
	v_sub_f32_e32 v72, v88, v76
	v_add_f32_e32 v11, v11, v9
	v_mul_f32_e32 v109, 0x3ed4b147, v32
	v_add_f32_e32 v80, v92, v79
	v_add_f32_e32 v79, v83, v57
	;; [unrolled: 1-line block ×7, first 2 shown]
	v_sub_f32_e32 v58, v104, v61
	v_add_f32_e32 v61, v72, v67
	v_sub_f32_e32 v67, v93, v78
	v_add_f32_e32 v68, v36, v97
	v_add_f32_e32 v11, v25, v11
	v_add_f32_e32 v10, v10, v8
	v_mul_f32_e32 v91, 0xbe11bafb, v34
	v_add_f32_e32 v54, v58, v54
	v_add_f32_e32 v58, v84, v57
	;; [unrolled: 1-line block ×7, first 2 shown]
	v_mul_f32_e32 v86, 0xbf27a4f4, v40
	v_mul_f32_e32 v92, 0xbf75a155, v51
	v_add_f32_e32 v25, v39, v61
	v_add_f32_e32 v39, v43, v91
	;; [unrolled: 1-line block ×4, first 2 shown]
	v_mul_f32_e32 v96, 0x3f575c64, v29
	v_mul_f32_e32 v106, 0x3ed4b147, v31
	v_add_f32_e32 v24, v39, v25
	v_add_f32_e32 v25, v53, v86
	;; [unrolled: 1-line block ×5, first 2 shown]
	v_sub_f32_e32 v35, v96, v35
	v_add_f32_e32 v24, v25, v24
	v_add_f32_e32 v17, v17, v11
	;; [unrolled: 1-line block ×3, first 2 shown]
	v_fmac_f32_e32 v102, 0xbf75a155, v29
	v_mul_f32_e32 v90, 0xbe11bafb, v33
	v_add_f32_e32 v11, v23, v24
	v_fma_f32 v23, 0xbf75a155, v30, -v59
	v_add_f32_e32 v35, v35, v8
	v_sub_f32_e32 v38, v106, v38
	v_add_f32_e32 v17, v19, v17
	v_add_f32_e32 v16, v16, v22
	;; [unrolled: 1-line block ×3, first 2 shown]
	v_fma_f32 v19, 0x3f575c64, v32, -v64
	v_add_f32_e32 v8, v102, v8
	v_fmac_f32_e32 v62, 0x3f575c64, v31
	v_mul_f32_e32 v94, 0xbf27a4f4, v37
	v_add_f32_e32 v35, v38, v35
	v_sub_f32_e32 v27, v90, v41
	v_add_f32_e32 v13, v13, v17
	v_add_f32_e32 v16, v18, v16
	v_mul_f32_e32 v89, 0xbe11bafb, v37
	v_add_f32_e32 v9, v19, v9
	v_fma_f32 v17, 0xbf27a4f4, v34, -v107
	v_add_f32_e32 v8, v62, v8
	v_fmac_f32_e32 v108, 0xbf27a4f4, v33
	v_mul_f32_e32 v83, 0xbf75a155, v42
	v_add_f32_e32 v21, v27, v35
	v_sub_f32_e32 v26, v94, v52
	v_add_f32_e32 v13, v15, v13
	v_add_f32_e32 v12, v12, v16
	v_mul_f32_e32 v82, 0x3f575c64, v42
	v_mul_f32_e32 v85, 0x3f575c64, v51
	v_sub_f32_e32 v63, v89, v63
	v_add_f32_e32 v9, v17, v9
	v_fma_f32 v15, 0x3ed4b147, v40, -v75
	v_add_f32_e32 v8, v108, v8
	v_fmac_f32_e32 v73, 0x3ed4b147, v37
	v_add_f32_e32 v20, v26, v21
	v_sub_f32_e32 v21, v83, v55
	v_add_f32_e32 v5, v5, v13
	v_add_f32_e32 v12, v14, v12
	v_and_b32_e32 v13, 0xffff, v50
	v_add_f32_e32 v65, v66, v65
	v_add_f32_e32 v66, v71, v85
	;; [unrolled: 1-line block ×3, first 2 shown]
	v_sub_f32_e32 v60, v82, v60
	v_add_f32_e32 v9, v15, v9
	v_fma_f32 v14, 0xbe11bafb, v51, -v110
	v_add_f32_e32 v8, v73, v8
	v_fmac_f32_e32 v103, 0xbe11bafb, v42
	v_add_f32_e32 v10, v21, v20
	v_add_f32_e32 v4, v4, v12
	v_add_lshl_u32 v12, v28, v13, 3
	v_add_f32_e32 v36, v66, v65
	v_add_f32_e32 v35, v60, v54
	;; [unrolled: 1-line block ×4, first 2 shown]
	ds_write2_b64 v12, v[4:5], v[10:11] offset1:1
	ds_write2_b64 v12, v[35:36], v[57:58] offset0:2 offset1:3
	ds_write2_b64 v12, v[79:80], v[69:70] offset0:4 offset1:5
	;; [unrolled: 1-line block ×4, first 2 shown]
	ds_write_b64 v12, v[45:46] offset:80
.LBB0_7:
	s_or_b32 exec_lo, exec_lo, s4
	v_and_b32_e32 v4, 0xff, v47
	v_mov_b32_e32 v8, 6
	s_load_dwordx4 s[4:7], s[2:3], 0x0
	s_waitcnt lgkmcnt(0)
	s_barrier
	v_mul_lo_u16 v4, 0x75, v4
	buffer_gl0_inv
	v_add_lshl_u32 v52, v28, v47, 3
	v_lshrrev_b16 v4, 8, v4
	v_add_nc_u32_e32 v40, 0x800, v52
	v_sub_nc_u16 v5, v47, v4
	v_lshrrev_b16 v5, 1, v5
	v_and_b32_e32 v5, 0x7f, v5
	v_add_nc_u16 v4, v5, v4
	v_lshrrev_b16 v4, 3, v4
	v_mul_lo_u16 v5, v4, 11
	v_sub_nc_u16 v33, v47, v5
	v_mul_u32_u24_sdwa v5, v33, v8 dst_sel:DWORD dst_unused:UNUSED_PAD src0_sel:BYTE_0 src1_sel:DWORD
	v_lshlrev_b32_e32 v5, 3, v5
	s_clause 0x2
	global_load_dwordx4 v[16:19], v5, s[0:1]
	global_load_dwordx4 v[12:15], v5, s[0:1] offset:16
	global_load_dwordx4 v[8:11], v5, s[0:1] offset:32
	v_mov_b32_e32 v5, 0x4d
	ds_read2_b64 v[20:23], v52 offset1:77
	ds_read2_b64 v[24:27], v52 offset0:154 offset1:231
	ds_read2_b64 v[29:32], v40 offset0:52 offset1:129
	v_mul_u32_u24_sdwa v34, v4, v5 dst_sel:DWORD dst_unused:UNUSED_PAD src0_sel:WORD_0 src1_sel:DWORD
	ds_read_b64 v[4:5], v52 offset:3696
	s_waitcnt vmcnt(0) lgkmcnt(0)
	s_barrier
	buffer_gl0_inv
	v_add_nc_u32_sdwa v35, v34, v33 dst_sel:DWORD dst_unused:UNUSED_PAD src0_sel:DWORD src1_sel:BYTE_0
	v_mad_u64_u32 v[33:34], null, v47, 48, s[0:1]
	v_add_lshl_u32 v53, v28, v35, 3
	v_mul_f32_e32 v28, v23, v17
	v_mul_f32_e32 v35, v22, v17
	;; [unrolled: 1-line block ×12, first 2 shown]
	v_fma_f32 v22, v22, v16, -v28
	v_fmac_f32_e32 v35, v23, v16
	v_fma_f32 v23, v24, v18, -v36
	v_fmac_f32_e32 v37, v25, v18
	;; [unrolled: 2-line block ×6, first 2 shown]
	v_add_f32_e32 v26, v22, v4
	v_add_f32_e32 v27, v35, v55
	v_add_f32_e32 v28, v23, v5
	v_add_f32_e32 v29, v37, v51
	v_sub_f32_e32 v4, v22, v4
	v_sub_f32_e32 v22, v35, v55
	v_sub_f32_e32 v5, v23, v5
	v_sub_f32_e32 v23, v37, v51
	v_add_f32_e32 v30, v24, v25
	v_add_f32_e32 v31, v39, v42
	v_sub_f32_e32 v24, v25, v24
	v_sub_f32_e32 v25, v42, v39
	v_add_f32_e32 v32, v28, v26
	v_add_f32_e32 v35, v29, v27
	v_sub_f32_e32 v36, v28, v26
	v_sub_f32_e32 v37, v29, v27
	;; [unrolled: 1-line block ×6, first 2 shown]
	v_add_f32_e32 v38, v24, v5
	v_add_f32_e32 v39, v25, v23
	v_sub_f32_e32 v41, v24, v5
	v_sub_f32_e32 v42, v25, v23
	;; [unrolled: 1-line block ×3, first 2 shown]
	v_add_f32_e32 v30, v30, v32
	v_add_f32_e32 v31, v31, v35
	v_sub_f32_e32 v23, v23, v22
	v_sub_f32_e32 v24, v4, v24
	;; [unrolled: 1-line block ×3, first 2 shown]
	v_add_f32_e32 v32, v38, v4
	v_add_f32_e32 v22, v39, v22
	v_mul_f32_e32 v26, 0x3f4a47b2, v26
	v_mul_f32_e32 v27, 0x3f4a47b2, v27
	;; [unrolled: 1-line block ×7, first 2 shown]
	v_add_f32_e32 v4, v20, v30
	v_add_f32_e32 v5, v21, v31
	v_mul_f32_e32 v51, 0x3f5ff5aa, v23
	v_fmamk_f32 v20, v28, 0x3d64c772, v26
	v_fmamk_f32 v21, v29, 0x3d64c772, v27
	v_fma_f32 v28, 0x3f3bfb3b, v36, -v35
	v_fma_f32 v29, 0x3f3bfb3b, v37, -v38
	;; [unrolled: 1-line block ×4, first 2 shown]
	v_fmamk_f32 v35, v24, 0x3eae86e6, v39
	v_fmamk_f32 v36, v25, 0x3eae86e6, v41
	v_fma_f32 v37, 0x3f5ff5aa, v43, -v39
	v_fma_f32 v38, 0x3f5ff5aa, v23, -v41
	;; [unrolled: 1-line block ×3, first 2 shown]
	v_fmamk_f32 v23, v30, 0xbf955555, v4
	v_fmamk_f32 v24, v31, 0xbf955555, v5
	v_fma_f32 v41, 0xbeae86e6, v25, -v51
	v_fmac_f32_e32 v35, 0x3ee1c552, v32
	v_fmac_f32_e32 v36, 0x3ee1c552, v22
	v_add_f32_e32 v30, v20, v23
	v_add_f32_e32 v31, v21, v24
	v_fmac_f32_e32 v37, 0x3ee1c552, v32
	v_fmac_f32_e32 v38, 0x3ee1c552, v22
	;; [unrolled: 1-line block ×4, first 2 shown]
	v_add_f32_e32 v28, v28, v23
	v_add_f32_e32 v32, v26, v23
	;; [unrolled: 1-line block ×5, first 2 shown]
	v_sub_f32_e32 v21, v31, v35
	v_add_f32_e32 v22, v41, v32
	v_sub_f32_e32 v23, v42, v39
	v_sub_f32_e32 v24, v28, v38
	v_add_f32_e32 v25, v37, v27
	v_add_f32_e32 v26, v38, v28
	v_sub_f32_e32 v27, v27, v37
	v_sub_f32_e32 v28, v32, v41
	v_add_f32_e32 v29, v39, v42
	v_sub_f32_e32 v30, v30, v36
	v_add_f32_e32 v31, v35, v31
	ds_write2_b64 v53, v[4:5], v[20:21] offset1:11
	ds_write2_b64 v53, v[22:23], v[24:25] offset0:22 offset1:33
	ds_write2_b64 v53, v[26:27], v[28:29] offset0:44 offset1:55
	ds_write_b64 v53, v[30:31] offset:528
	s_waitcnt lgkmcnt(0)
	s_barrier
	buffer_gl0_inv
	s_clause 0x2
	global_load_dwordx4 v[28:31], v[33:34], off offset:528
	global_load_dwordx4 v[24:27], v[33:34], off offset:544
	global_load_dwordx4 v[20:23], v[33:34], off offset:560
	ds_read2_b64 v[32:35], v52 offset1:77
	ds_read2_b64 v[36:39], v52 offset0:154 offset1:231
	ds_read2_b64 v[40:43], v40 offset0:52 offset1:129
	ds_read_b64 v[4:5], v52 offset:3696
	v_lshl_add_u32 v51, v47, 3, v49
	v_add_nc_u32_e32 v54, 0x800, v51
	s_waitcnt vmcnt(2) lgkmcnt(3)
	v_mul_f32_e32 v55, v35, v29
	v_mul_f32_e32 v56, v34, v29
	s_waitcnt lgkmcnt(2)
	v_mul_f32_e32 v57, v37, v31
	v_mul_f32_e32 v58, v36, v31
	s_waitcnt vmcnt(0) lgkmcnt(1)
	v_mul_f32_e32 v63, v43, v21
	v_mul_f32_e32 v64, v42, v21
	s_waitcnt lgkmcnt(0)
	v_mul_f32_e32 v65, v5, v23
	v_mul_f32_e32 v66, v4, v23
	;; [unrolled: 1-line block ×6, first 2 shown]
	v_fma_f32 v34, v34, v28, -v55
	v_fmac_f32_e32 v56, v35, v28
	v_fma_f32 v35, v36, v30, -v57
	v_fmac_f32_e32 v58, v37, v30
	;; [unrolled: 2-line block ×6, first 2 shown]
	v_add_f32_e32 v38, v34, v4
	v_add_f32_e32 v39, v56, v66
	;; [unrolled: 1-line block ×4, first 2 shown]
	v_sub_f32_e32 v4, v34, v4
	v_sub_f32_e32 v34, v56, v66
	;; [unrolled: 1-line block ×4, first 2 shown]
	v_add_f32_e32 v42, v36, v37
	v_add_f32_e32 v43, v60, v62
	v_sub_f32_e32 v36, v37, v36
	v_sub_f32_e32 v37, v62, v60
	v_add_f32_e32 v55, v40, v38
	v_add_f32_e32 v56, v41, v39
	v_sub_f32_e32 v57, v40, v38
	v_sub_f32_e32 v58, v41, v39
	;; [unrolled: 1-line block ×6, first 2 shown]
	v_add_f32_e32 v59, v36, v5
	v_add_f32_e32 v60, v37, v35
	v_sub_f32_e32 v61, v36, v5
	v_sub_f32_e32 v62, v37, v35
	;; [unrolled: 1-line block ×4, first 2 shown]
	v_add_f32_e32 v42, v42, v55
	v_add_f32_e32 v43, v43, v56
	v_sub_f32_e32 v36, v4, v36
	v_sub_f32_e32 v37, v34, v37
	v_add_f32_e32 v4, v59, v4
	v_add_f32_e32 v34, v60, v34
	v_mul_f32_e32 v38, 0x3f4a47b2, v38
	v_mul_f32_e32 v39, 0x3f4a47b2, v39
	;; [unrolled: 1-line block ×8, first 2 shown]
	v_add_f32_e32 v32, v32, v42
	v_add_f32_e32 v33, v33, v43
	v_fmamk_f32 v40, v40, 0x3d64c772, v38
	v_fmamk_f32 v41, v41, 0x3d64c772, v39
	v_fma_f32 v55, 0x3f3bfb3b, v57, -v55
	v_fma_f32 v56, 0x3f3bfb3b, v58, -v56
	;; [unrolled: 1-line block ×4, first 2 shown]
	v_fmamk_f32 v57, v36, 0x3eae86e6, v59
	v_fmamk_f32 v58, v37, 0x3eae86e6, v60
	v_fma_f32 v5, 0x3f5ff5aa, v5, -v59
	v_fma_f32 v59, 0x3f5ff5aa, v35, -v60
	;; [unrolled: 1-line block ×4, first 2 shown]
	v_fmamk_f32 v35, v42, 0xbf955555, v32
	v_fmamk_f32 v36, v43, 0xbf955555, v33
	v_fmac_f32_e32 v57, 0x3ee1c552, v4
	v_fmac_f32_e32 v58, 0x3ee1c552, v34
	;; [unrolled: 1-line block ×6, first 2 shown]
	v_add_f32_e32 v4, v40, v35
	v_add_f32_e32 v62, v41, v36
	;; [unrolled: 1-line block ×7, first 2 shown]
	v_sub_f32_e32 v35, v62, v57
	v_add_f32_e32 v40, v61, v38
	v_sub_f32_e32 v41, v39, v60
	v_sub_f32_e32 v42, v37, v59
	v_add_f32_e32 v43, v5, v55
	v_add_f32_e32 v36, v59, v37
	v_sub_f32_e32 v37, v55, v5
	v_sub_f32_e32 v38, v38, v61
	v_add_f32_e32 v39, v60, v39
	v_sub_f32_e32 v4, v4, v58
	v_add_f32_e32 v5, v57, v62
	ds_write2_b64 v51, v[32:33], v[34:35] offset1:77
	ds_write2_b64 v51, v[40:41], v[42:43] offset0:154 offset1:231
	ds_write2_b64 v54, v[36:37], v[38:39] offset0:52 offset1:129
	ds_write_b64 v51, v[4:5] offset:3696
	s_waitcnt lgkmcnt(0)
	s_barrier
	buffer_gl0_inv
	s_and_saveexec_b32 s1, vcc_lo
	s_cbranch_execz .LBB0_9
; %bb.8:
	v_add_co_u32 v59, s0, s14, v48
	v_add_co_ci_u32_e64 v60, null, s15, 0, s0
	v_add_co_u32 v55, s0, 0x1000, v59
	v_add_co_ci_u32_e64 v56, s0, 0, v60, s0
	v_add_co_u32 v57, s0, 0x10d8, v59
	v_add_co_ci_u32_e64 v58, s0, 0, v60, s0
	s_clause 0x1
	global_load_dwordx2 v[75:76], v[55:56], off offset:216
	global_load_dwordx2 v[77:78], v[57:58], off offset:392
	v_add_co_u32 v55, s0, 0x1800, v59
	v_add_co_ci_u32_e64 v56, s0, 0, v60, s0
	s_clause 0x5
	global_load_dwordx2 v[79:80], v[57:58], off offset:784
	global_load_dwordx2 v[81:82], v[57:58], off offset:1176
	;; [unrolled: 1-line block ×6, first 2 shown]
	v_add_co_u32 v57, s0, 0x2000, v59
	v_add_co_ci_u32_e64 v58, s0, 0, v60, s0
	s_clause 0x2
	global_load_dwordx2 v[91:92], v[55:56], off offset:1304
	global_load_dwordx2 v[93:94], v[55:56], off offset:1696
	;; [unrolled: 1-line block ×3, first 2 shown]
	ds_read2_b64 v[55:58], v51 offset1:49
	ds_read2_b64 v[59:62], v51 offset0:98 offset1:147
	ds_read2_b64 v[63:66], v51 offset0:196 offset1:245
	ds_read2_b64 v[67:70], v54 offset0:38 offset1:87
	ds_read2_b64 v[71:74], v54 offset0:136 offset1:185
	ds_read_b64 v[97:98], v51 offset:3920
	s_waitcnt vmcnt(10) lgkmcnt(5)
	v_mul_f32_e32 v99, v56, v76
	v_mul_f32_e32 v100, v55, v76
	s_waitcnt vmcnt(9)
	v_mul_f32_e32 v101, v58, v78
	v_mul_f32_e32 v76, v57, v78
	s_waitcnt vmcnt(8) lgkmcnt(4)
	v_mul_f32_e32 v102, v60, v80
	v_mul_f32_e32 v78, v59, v80
	s_waitcnt vmcnt(7)
	v_mul_f32_e32 v103, v62, v82
	v_mul_f32_e32 v80, v61, v82
	;; [unrolled: 6-line block ×3, first 2 shown]
	s_waitcnt lgkmcnt(2)
	v_mul_f32_e32 v106, v68, v86
	v_mul_f32_e32 v90, v67, v86
	;; [unrolled: 1-line block ×4, first 2 shown]
	s_waitcnt vmcnt(2) lgkmcnt(1)
	v_mul_f32_e32 v108, v72, v92
	v_mul_f32_e32 v88, v71, v92
	s_waitcnt vmcnt(1)
	v_mul_f32_e32 v109, v74, v94
	v_mul_f32_e32 v92, v73, v94
	s_waitcnt vmcnt(0) lgkmcnt(0)
	v_mul_f32_e32 v110, v98, v96
	v_mul_f32_e32 v94, v97, v96
	v_fma_f32 v99, v55, v75, -v99
	v_fmac_f32_e32 v100, v56, v75
	v_fma_f32 v75, v57, v77, -v101
	v_fmac_f32_e32 v76, v58, v77
	;; [unrolled: 2-line block ×11, first 2 shown]
	ds_write2_b64 v51, v[99:100], v[75:76] offset1:49
	ds_write2_b64 v51, v[77:78], v[79:80] offset0:98 offset1:147
	ds_write2_b64 v51, v[81:82], v[83:84] offset0:196 offset1:245
	;; [unrolled: 1-line block ×4, first 2 shown]
	ds_write_b64 v51, v[93:94] offset:3920
.LBB0_9:
	s_or_b32 exec_lo, exec_lo, s1
	s_waitcnt lgkmcnt(0)
	s_barrier
	buffer_gl0_inv
	s_and_saveexec_b32 s0, vcc_lo
	s_cbranch_execz .LBB0_11
; %bb.10:
	v_add_nc_u32_e32 v0, 0x800, v51
	ds_read2_b64 v[32:35], v51 offset1:49
	ds_read2_b64 v[40:43], v51 offset0:98 offset1:147
	ds_read2_b64 v[36:39], v51 offset0:196 offset1:245
	;; [unrolled: 1-line block ×4, first 2 shown]
	ds_read_b64 v[45:46], v51 offset:3920
.LBB0_11:
	s_or_b32 exec_lo, exec_lo, s0
	s_waitcnt lgkmcnt(0)
	s_barrier
	buffer_gl0_inv
	s_and_saveexec_b32 s0, vcc_lo
	s_cbranch_execz .LBB0_13
; %bb.12:
	v_add_f32_e32 v60, v46, v35
	v_sub_f32_e32 v62, v34, v45
	v_add_f32_e32 v63, v3, v41
	v_sub_f32_e32 v64, v40, v2
	v_add_f32_e32 v65, v1, v43
	v_mul_f32_e32 v66, 0xbf75a155, v60
	v_sub_f32_e32 v72, v35, v46
	v_mul_f32_e32 v70, 0x3f575c64, v63
	v_sub_f32_e32 v67, v42, v0
	v_add_f32_e32 v68, v7, v37
	v_fmamk_f32 v54, v62, 0x3e903f40, v66
	v_mul_f32_e32 v73, 0xbf27a4f4, v65
	v_fmamk_f32 v55, v64, 0xbf0a6770, v70
	v_add_f32_e32 v74, v45, v34
	v_mul_f32_e32 v76, 0xbe903f40, v72
	v_add_f32_e32 v54, v33, v54
	v_sub_f32_e32 v77, v41, v3
	v_sub_f32_e32 v69, v36, v6
	v_add_f32_e32 v71, v5, v39
	v_mul_f32_e32 v75, 0x3ed4b147, v68
	v_fmamk_f32 v56, v67, 0x3f4178ce, v73
	v_add_f32_e32 v54, v55, v54
	v_add_f32_e32 v78, v2, v40
	v_fmamk_f32 v57, v74, 0xbf75a155, v76
	v_mul_f32_e32 v79, 0x3f0a6770, v77
	v_sub_f32_e32 v81, v43, v1
	v_fmamk_f32 v55, v69, 0xbf68dda4, v75
	v_add_f32_e32 v54, v56, v54
	v_mul_f32_e32 v80, 0xbe11bafb, v71
	v_sub_f32_e32 v82, v38, v4
	v_add_f32_e32 v56, v32, v57
	v_fmamk_f32 v57, v78, 0x3f575c64, v79
	v_add_f32_e32 v83, v0, v42
	v_mul_f32_e32 v84, 0xbf4178ce, v81
	v_add_f32_e32 v54, v55, v54
	v_fmamk_f32 v55, v82, 0x3f7d64f0, v80
	v_add_f32_e32 v56, v57, v56
	v_mul_f32_e32 v85, 0xbf27a4f4, v60
	v_fmamk_f32 v57, v83, 0xbf27a4f4, v84
	v_sub_f32_e32 v86, v37, v7
	v_add_f32_e32 v55, v55, v54
	v_mul_f32_e32 v87, 0xbe11bafb, v63
	v_add_f32_e32 v88, v6, v36
	v_add_f32_e32 v54, v57, v56
	v_fmamk_f32 v56, v62, 0x3f4178ce, v85
	v_mul_f32_e32 v89, 0x3f68dda4, v86
	v_sub_f32_e32 v90, v39, v5
	v_fmamk_f32 v57, v64, 0xbf7d64f0, v87
	v_mul_f32_e32 v91, 0x3f575c64, v65
	v_add_f32_e32 v56, v33, v56
	v_fmamk_f32 v58, v88, 0x3ed4b147, v89
	v_add_f32_e32 v92, v4, v38
	v_mul_f32_e32 v93, 0xbf7d64f0, v90
	v_mul_f32_e32 v94, 0xbf75a155, v68
	v_add_f32_e32 v56, v57, v56
	v_fmamk_f32 v57, v67, 0x3f0a6770, v91
	v_add_f32_e32 v54, v58, v54
	v_fmamk_f32 v58, v92, 0xbe11bafb, v93
	v_mul_f32_e32 v95, 0xbf4178ce, v72
	v_mul_f32_e32 v96, 0x3ed4b147, v71
	v_add_f32_e32 v56, v57, v56
	v_fmamk_f32 v57, v69, 0x3e903f40, v94
	v_add_f32_e32 v54, v58, v54
	v_fmamk_f32 v58, v74, 0xbf27a4f4, v95
	;; [unrolled: 6-line block ×4, first 2 shown]
	v_mul_f32_e32 v101, 0xbe903f40, v86
	v_fmamk_f32 v61, v64, 0xbe903f40, v100
	v_add_f32_e32 v56, v33, v56
	v_mul_f32_e32 v102, 0x3ed4b147, v65
	v_add_f32_e32 v58, v59, v58
	v_fmamk_f32 v59, v88, 0xbf75a155, v101
	v_mul_f32_e32 v103, 0x3f68dda4, v90
	v_add_f32_e32 v56, v61, v56
	v_fmamk_f32 v61, v67, 0xbf68dda4, v102
	;; [unrolled: 3-line block ×4, first 2 shown]
	v_mul_f32_e32 v111, 0xbf27a4f4, v63
	v_add_f32_e32 v56, v59, v58
	v_mul_f32_e32 v114, 0xbf75a155, v65
	v_mul_f32_e32 v116, 0xbe11bafb, v68
	v_add_f32_e32 v59, v106, v61
	v_fmamk_f32 v61, v82, 0x3f4178ce, v107
	v_mul_f32_e32 v106, 0x3ed4b147, v60
	v_fmamk_f32 v113, v64, 0x3f4178ce, v111
	v_mul_f32_e32 v118, 0x3f575c64, v71
	v_add_f32_e32 v35, v35, v33
	v_add_f32_e32 v59, v61, v59
	v_fmamk_f32 v61, v62, 0x3f68dda4, v106
	v_mul_f32_e32 v120, 0x3f575c64, v60
	v_add_f32_e32 v34, v34, v32
	v_add_f32_e32 v35, v41, v35
	v_mul_f32_e32 v63, 0x3ed4b147, v63
	v_add_f32_e32 v61, v33, v61
	v_mul_f32_e32 v65, 0xbe11bafb, v65
	v_add_f32_e32 v34, v40, v34
	v_add_f32_e32 v35, v43, v35
	v_fmamk_f32 v123, v64, 0x3f68dda4, v63
	v_add_f32_e32 v61, v113, v61
	v_fmamk_f32 v113, v67, 0xbe903f40, v114
	v_add_f32_e32 v34, v42, v34
	v_add_f32_e32 v35, v37, v35
	v_mul_f32_e32 v68, 0xbf27a4f4, v68
	v_mul_f32_e32 v41, 0xbf0a6770, v72
	v_add_f32_e32 v61, v113, v61
	v_fmamk_f32 v113, v69, 0xbf7d64f0, v116
	v_add_f32_e32 v35, v39, v35
	v_add_f32_e32 v34, v36, v34
	v_fmamk_f32 v40, v74, 0x3f575c64, v41
	v_mul_f32_e32 v43, 0xbf68dda4, v77
	v_add_f32_e32 v61, v113, v61
	v_fmamk_f32 v113, v82, 0xbf0a6770, v118
	v_mul_f32_e32 v71, 0xbf75a155, v71
	v_add_f32_e32 v35, v5, v35
	v_add_f32_e32 v34, v38, v34
	v_mul_f32_e32 v105, 0xbf7d64f0, v72
	v_add_f32_e32 v61, v113, v61
	v_fmamk_f32 v113, v62, 0x3f0a6770, v120
	v_mul_f32_e32 v117, 0xbf68dda4, v72
	v_add_f32_e32 v37, v32, v40
	v_fmamk_f32 v40, v78, 0x3ed4b147, v43
	;; [unrolled: 3-line block ×3, first 2 shown]
	v_add_f32_e32 v7, v7, v35
	v_add_f32_e32 v4, v4, v34
	v_fmac_f32_e32 v66, 0xbe903f40, v62
	v_add_f32_e32 v113, v123, v113
	v_fmamk_f32 v123, v67, 0x3f7d64f0, v65
	v_add_f32_e32 v37, v40, v37
	v_fmamk_f32 v39, v83, 0xbe11bafb, v42
	v_add_f32_e32 v1, v1, v7
	v_add_f32_e32 v4, v6, v4
	;; [unrolled: 1-line block ×3, first 2 shown]
	v_fmamk_f32 v123, v69, 0x3f4178ce, v68
	v_add_f32_e32 v6, v33, v66
	v_fmac_f32_e32 v70, 0x3f0a6770, v64
	v_add_f32_e32 v37, v39, v37
	v_mul_f32_e32 v38, 0xbe903f40, v90
	v_add_f32_e32 v72, v123, v113
	v_add_f32_e32 v1, v3, v1
	;; [unrolled: 1-line block ×4, first 2 shown]
	v_fmac_f32_e32 v73, 0xbf4178ce, v67
	v_add_f32_e32 v5, v36, v72
	v_mul_f32_e32 v36, 0xbf4178ce, v86
	v_fma_f32 v6, 0xbf75a155, v74, -v76
	v_add_f32_e32 v0, v2, v0
	v_add_f32_e32 v2, v73, v3
	v_fmac_f32_e32 v75, 0x3f68dda4, v69
	v_fmamk_f32 v34, v88, 0xbf27a4f4, v36
	v_add_f32_e32 v3, v32, v6
	v_fma_f32 v6, 0x3f575c64, v78, -v79
	v_fmac_f32_e32 v85, 0xbf4178ce, v62
	v_add_f32_e32 v2, v75, v2
	v_add_f32_e32 v7, v34, v37
	v_fmamk_f32 v34, v92, 0xbf75a155, v38
	v_fmac_f32_e32 v80, 0xbf7d64f0, v82
	v_add_f32_e32 v6, v6, v3
	v_fmac_f32_e32 v87, 0x3f7d64f0, v64
	v_fmac_f32_e32 v91, 0xbf0a6770, v67
	v_add_f32_e32 v4, v34, v7
	v_fma_f32 v7, 0xbf27a4f4, v83, -v84
	v_add_f32_e32 v34, v33, v85
	v_add_f32_e32 v3, v80, v2
	v_fma_f32 v2, 0xbf27a4f4, v74, -v95
	v_fma_f32 v35, 0xbe11bafb, v78, -v97
	v_add_f32_e32 v6, v7, v6
	v_fma_f32 v7, 0x3ed4b147, v88, -v89
	v_add_f32_e32 v34, v87, v34
	v_add_f32_e32 v2, v32, v2
	v_fmac_f32_e32 v94, 0xbe903f40, v69
	v_fma_f32 v37, 0x3f575c64, v83, -v99
	v_add_f32_e32 v6, v7, v6
	v_fma_f32 v7, 0xbe11bafb, v92, -v93
	v_add_f32_e32 v34, v91, v34
	v_add_f32_e32 v35, v35, v2
	v_fmac_f32_e32 v98, 0xbf7d64f0, v62
	v_fmac_f32_e32 v96, 0x3f68dda4, v82
	v_add_f32_e32 v2, v7, v6
	v_add_f32_e32 v6, v94, v34
	v_fmamk_f32 v58, v74, 0xbe11bafb, v105
	v_mul_f32_e32 v108, 0x3e903f40, v77
	v_add_f32_e32 v34, v37, v35
	v_fma_f32 v35, 0xbf75a155, v88, -v101
	v_add_f32_e32 v37, v33, v98
	v_fmac_f32_e32 v100, 0x3e903f40, v64
	v_add_f32_e32 v7, v96, v6
	v_fma_f32 v6, 0xbe11bafb, v74, -v105
	v_add_f32_e32 v58, v32, v58
	v_fmamk_f32 v109, v78, 0xbf75a155, v108
	v_mul_f32_e32 v110, 0x3f68dda4, v81
	v_add_f32_e32 v34, v35, v34
	v_fma_f32 v35, 0x3ed4b147, v92, -v103
	v_add_f32_e32 v37, v100, v37
	v_fmac_f32_e32 v102, 0x3f68dda4, v67
	v_add_f32_e32 v39, v32, v6
	v_fma_f32 v40, 0xbf75a155, v78, -v108
	v_fmac_f32_e32 v106, 0xbf68dda4, v62
	v_add_f32_e32 v58, v109, v58
	v_fmamk_f32 v109, v83, 0x3ed4b147, v110
	v_mul_f32_e32 v112, 0xbf0a6770, v86
	v_add_f32_e32 v6, v35, v34
	v_add_f32_e32 v34, v102, v37
	v_fmac_f32_e32 v104, 0xbf0a6770, v69
	v_add_f32_e32 v35, v40, v39
	v_fma_f32 v37, 0x3ed4b147, v83, -v110
	v_add_f32_e32 v39, v33, v106
	v_fmac_f32_e32 v111, 0xbf4178ce, v64
	v_add_f32_e32 v58, v109, v58
	v_fmamk_f32 v109, v88, 0x3f575c64, v112
	v_mul_f32_e32 v115, 0xbf4178ce, v90
	v_add_f32_e32 v34, v104, v34
	v_fmac_f32_e32 v107, 0xbf4178ce, v82
	v_add_f32_e32 v37, v37, v35
	v_fma_f32 v40, 0x3f575c64, v88, -v112
	v_add_f32_e32 v39, v111, v39
	v_fmac_f32_e32 v114, 0x3e903f40, v67
	v_add_f32_e32 v58, v109, v58
	v_fmamk_f32 v109, v92, 0xbf27a4f4, v115
	v_mul_f32_e32 v119, 0xbf4178ce, v77
	v_add_f32_e32 v35, v107, v34
	v_fma_f32 v34, 0x3ed4b147, v74, -v117
	v_add_f32_e32 v37, v40, v37
	v_fma_f32 v40, 0xbf27a4f4, v92, -v115
	v_add_f32_e32 v39, v114, v39
	v_fmac_f32_e32 v116, 0x3f7d64f0, v69
	v_add_f32_e32 v58, v109, v58
	v_fmamk_f32 v109, v74, 0x3ed4b147, v117
	v_mul_f32_e32 v121, 0x3e903f40, v81
	v_add_f32_e32 v1, v46, v1
	v_add_f32_e32 v0, v45, v0
	;; [unrolled: 1-line block ×3, first 2 shown]
	v_fma_f32 v46, 0xbf27a4f4, v78, -v119
	v_add_f32_e32 v34, v40, v37
	v_fmac_f32_e32 v120, 0xbf0a6770, v62
	v_add_f32_e32 v37, v116, v39
	v_fma_f32 v39, 0x3f575c64, v74, -v41
	v_add_f32_e32 v60, v32, v109
	v_fmamk_f32 v109, v78, 0xbf27a4f4, v119
	v_mul_f32_e32 v122, 0x3f7d64f0, v86
	v_add_f32_e32 v40, v46, v45
	v_fma_f32 v41, 0xbf75a155, v83, -v121
	v_add_f32_e32 v33, v33, v120
	v_fmac_f32_e32 v63, 0xbf68dda4, v64
	v_add_f32_e32 v32, v32, v39
	v_fma_f32 v39, 0x3ed4b147, v78, -v43
	v_add_f32_e32 v60, v109, v60
	v_fmamk_f32 v109, v83, 0xbf75a155, v121
	v_add_f32_e32 v40, v41, v40
	v_fma_f32 v41, 0xbe11bafb, v88, -v122
	v_add_f32_e32 v33, v63, v33
	v_fmac_f32_e32 v65, 0xbf7d64f0, v67
	v_add_f32_e32 v32, v39, v32
	v_fma_f32 v39, 0xbe11bafb, v83, -v42
	v_add_f32_e32 v60, v109, v60
	v_fmamk_f32 v109, v88, 0xbe11bafb, v122
	v_mul_f32_e32 v124, 0x3f0a6770, v90
	v_add_f32_e32 v40, v41, v40
	v_add_f32_e32 v33, v65, v33
	v_fmac_f32_e32 v68, 0xbf4178ce, v69
	v_add_f32_e32 v32, v39, v32
	v_fma_f32 v36, 0xbf27a4f4, v88, -v36
	v_and_b32_e32 v41, 0xffff, v50
	v_add_f32_e32 v60, v109, v60
	v_fmamk_f32 v109, v92, 0x3f575c64, v124
	v_fmac_f32_e32 v118, 0x3f0a6770, v82
	v_fma_f32 v39, 0x3f575c64, v92, -v124
	v_add_f32_e32 v42, v68, v33
	v_fmac_f32_e32 v71, 0xbe903f40, v82
	v_add_f32_e32 v36, v36, v32
	v_fma_f32 v38, 0xbf75a155, v92, -v38
	v_lshl_add_u32 v41, v41, 3, v49
	v_add_f32_e32 v60, v109, v60
	v_add_f32_e32 v33, v118, v37
	;; [unrolled: 1-line block ×5, first 2 shown]
	ds_write2_b64 v41, v[0:1], v[4:5] offset1:1
	ds_write2_b64 v41, v[60:61], v[58:59] offset0:2 offset1:3
	ds_write2_b64 v41, v[56:57], v[54:55] offset0:4 offset1:5
	;; [unrolled: 1-line block ×4, first 2 shown]
	ds_write_b64 v41, v[36:37] offset:80
.LBB0_13:
	s_or_b32 exec_lo, exec_lo, s0
	v_add_nc_u32_e32 v38, 0x800, v52
	s_waitcnt lgkmcnt(0)
	s_barrier
	buffer_gl0_inv
	ds_read2_b64 v[0:3], v52 offset1:77
	ds_read2_b64 v[4:7], v52 offset0:154 offset1:231
	ds_read_b64 v[36:37], v52 offset:3696
	ds_read2_b64 v[32:35], v38 offset0:52 offset1:129
	s_waitcnt lgkmcnt(0)
	s_barrier
	buffer_gl0_inv
	v_mul_f32_e32 v39, v17, v3
	v_mul_f32_e32 v40, v19, v5
	;; [unrolled: 1-line block ×8, first 2 shown]
	v_fmac_f32_e32 v40, v18, v4
	v_fma_f32 v4, v12, v7, -v13
	v_mul_f32_e32 v7, v9, v35
	v_mul_f32_e32 v9, v9, v34
	v_fmac_f32_e32 v39, v16, v2
	v_fma_f32 v2, v16, v3, -v17
	v_fma_f32 v3, v18, v5, -v19
	v_fmac_f32_e32 v41, v12, v6
	v_mul_f32_e32 v5, v15, v33
	v_mul_f32_e32 v6, v15, v32
	v_fmac_f32_e32 v42, v10, v36
	v_fma_f32 v10, v10, v37, -v11
	v_fmac_f32_e32 v7, v8, v34
	v_fma_f32 v8, v8, v35, -v9
	;; [unrolled: 2-line block ×3, first 2 shown]
	v_add_f32_e32 v9, v39, v42
	v_add_f32_e32 v11, v2, v10
	v_sub_f32_e32 v2, v2, v10
	v_add_f32_e32 v10, v40, v7
	v_add_f32_e32 v13, v3, v8
	v_sub_f32_e32 v7, v40, v7
	v_sub_f32_e32 v3, v3, v8
	v_add_f32_e32 v8, v41, v5
	v_add_f32_e32 v14, v4, v6
	v_sub_f32_e32 v5, v5, v41
	;; [unrolled: 4-line block ×3, first 2 shown]
	v_sub_f32_e32 v16, v10, v9
	v_sub_f32_e32 v17, v13, v11
	;; [unrolled: 1-line block ×6, first 2 shown]
	v_add_f32_e32 v18, v5, v7
	v_add_f32_e32 v19, v4, v3
	v_sub_f32_e32 v32, v5, v7
	v_sub_f32_e32 v33, v4, v3
	v_add_f32_e32 v6, v8, v6
	v_add_f32_e32 v8, v14, v15
	v_sub_f32_e32 v7, v7, v12
	v_sub_f32_e32 v3, v3, v2
	;; [unrolled: 1-line block ×4, first 2 shown]
	v_add_f32_e32 v12, v18, v12
	v_add_f32_e32 v2, v19, v2
	;; [unrolled: 1-line block ×4, first 2 shown]
	v_mul_f32_e32 v9, 0x3f4a47b2, v9
	v_mul_f32_e32 v11, 0x3f4a47b2, v11
	;; [unrolled: 1-line block ×8, first 2 shown]
	v_fmamk_f32 v6, v6, 0xbf955555, v0
	v_fmamk_f32 v8, v8, 0xbf955555, v1
	;; [unrolled: 1-line block ×4, first 2 shown]
	v_fma_f32 v14, 0x3f3bfb3b, v16, -v14
	v_fma_f32 v15, 0x3f3bfb3b, v17, -v15
	;; [unrolled: 1-line block ×4, first 2 shown]
	v_fmamk_f32 v16, v5, 0xbeae86e6, v18
	v_fmamk_f32 v17, v4, 0xbeae86e6, v19
	v_fma_f32 v18, 0xbf5ff5aa, v7, -v18
	v_fma_f32 v19, 0xbf5ff5aa, v3, -v19
	;; [unrolled: 1-line block ×4, first 2 shown]
	v_add_f32_e32 v34, v10, v6
	v_add_f32_e32 v13, v13, v8
	v_fmac_f32_e32 v16, 0xbee1c552, v12
	v_fmac_f32_e32 v17, 0xbee1c552, v2
	v_add_f32_e32 v10, v14, v6
	v_add_f32_e32 v14, v15, v8
	;; [unrolled: 1-line block ×4, first 2 shown]
	v_fmac_f32_e32 v18, 0xbee1c552, v12
	v_fmac_f32_e32 v33, 0xbee1c552, v2
	;; [unrolled: 1-line block ×4, first 2 shown]
	v_add_f32_e32 v2, v17, v34
	v_sub_f32_e32 v3, v13, v16
	v_add_f32_e32 v4, v33, v15
	v_sub_f32_e32 v5, v11, v32
	v_sub_f32_e32 v6, v10, v19
	v_add_f32_e32 v7, v18, v14
	v_add_f32_e32 v8, v19, v10
	v_sub_f32_e32 v9, v14, v18
	v_sub_f32_e32 v10, v15, v33
	v_add_f32_e32 v11, v32, v11
	v_sub_f32_e32 v12, v34, v17
	v_add_f32_e32 v13, v16, v13
	ds_write2_b64 v53, v[0:1], v[2:3] offset1:11
	ds_write2_b64 v53, v[4:5], v[6:7] offset0:22 offset1:33
	ds_write2_b64 v53, v[8:9], v[10:11] offset0:44 offset1:55
	ds_write_b64 v53, v[12:13] offset:528
	s_waitcnt lgkmcnt(0)
	s_barrier
	buffer_gl0_inv
	ds_read2_b64 v[0:3], v52 offset1:77
	ds_read2_b64 v[4:7], v52 offset0:154 offset1:231
	ds_read2_b64 v[8:11], v38 offset0:52 offset1:129
	ds_read_b64 v[12:13], v52 offset:3696
	s_waitcnt lgkmcnt(3)
	v_mul_f32_e32 v14, v29, v3
	v_mul_f32_e32 v15, v29, v2
	s_waitcnt lgkmcnt(2)
	v_mul_f32_e32 v16, v25, v7
	v_mul_f32_e32 v17, v25, v6
	s_waitcnt lgkmcnt(1)
	v_mul_f32_e32 v18, v27, v9
	v_fmac_f32_e32 v14, v28, v2
	v_fma_f32 v2, v28, v3, -v15
	v_mul_f32_e32 v3, v31, v5
	v_mul_f32_e32 v15, v31, v4
	v_fmac_f32_e32 v16, v24, v6
	v_fmac_f32_e32 v18, v26, v8
	s_waitcnt lgkmcnt(0)
	v_mul_f32_e32 v6, v23, v13
	v_fmac_f32_e32 v3, v30, v4
	v_fma_f32 v4, v30, v5, -v15
	v_fma_f32 v5, v24, v7, -v17
	v_mul_f32_e32 v7, v23, v12
	v_mul_f32_e32 v8, v27, v8
	;; [unrolled: 1-line block ×4, first 2 shown]
	v_fmac_f32_e32 v6, v22, v12
	v_fma_f32 v7, v22, v13, -v7
	v_fma_f32 v8, v26, v9, -v8
	v_fmac_f32_e32 v15, v20, v10
	v_fma_f32 v9, v20, v11, -v17
	v_add_f32_e32 v10, v14, v6
	v_add_f32_e32 v11, v2, v7
	v_sub_f32_e32 v2, v2, v7
	v_add_f32_e32 v7, v3, v15
	v_add_f32_e32 v12, v4, v9
	v_sub_f32_e32 v6, v14, v6
	v_sub_f32_e32 v3, v3, v15
	;; [unrolled: 1-line block ×3, first 2 shown]
	v_add_f32_e32 v9, v16, v18
	v_add_f32_e32 v13, v5, v8
	v_sub_f32_e32 v14, v18, v16
	v_sub_f32_e32 v5, v8, v5
	v_add_f32_e32 v8, v7, v10
	v_add_f32_e32 v15, v12, v11
	v_sub_f32_e32 v16, v7, v10
	v_sub_f32_e32 v17, v12, v11
	;; [unrolled: 1-line block ×6, first 2 shown]
	v_add_f32_e32 v18, v14, v3
	v_add_f32_e32 v19, v5, v4
	v_sub_f32_e32 v20, v14, v3
	v_sub_f32_e32 v21, v5, v4
	;; [unrolled: 1-line block ×3, first 2 shown]
	v_add_f32_e32 v8, v9, v8
	v_add_f32_e32 v9, v13, v15
	v_sub_f32_e32 v4, v4, v2
	v_sub_f32_e32 v14, v6, v14
	;; [unrolled: 1-line block ×3, first 2 shown]
	v_add_f32_e32 v6, v18, v6
	v_add_f32_e32 v13, v19, v2
	;; [unrolled: 1-line block ×4, first 2 shown]
	v_mul_f32_e32 v0, 0x3f4a47b2, v10
	v_mul_f32_e32 v1, 0x3f4a47b2, v11
	;; [unrolled: 1-line block ×8, first 2 shown]
	v_fmamk_f32 v8, v8, 0xbf955555, v2
	v_fmamk_f32 v9, v9, 0xbf955555, v3
	;; [unrolled: 1-line block ×4, first 2 shown]
	v_fma_f32 v10, 0x3f3bfb3b, v16, -v10
	v_fma_f32 v11, 0x3f3bfb3b, v17, -v11
	;; [unrolled: 1-line block ×4, first 2 shown]
	v_fmamk_f32 v16, v14, 0xbeae86e6, v15
	v_fmamk_f32 v17, v5, 0xbeae86e6, v18
	v_fma_f32 v14, 0x3eae86e6, v14, -v19
	v_fma_f32 v19, 0x3eae86e6, v5, -v20
	;; [unrolled: 1-line block ×4, first 2 shown]
	v_add_f32_e32 v20, v7, v8
	v_add_f32_e32 v21, v12, v9
	;; [unrolled: 1-line block ×3, first 2 shown]
	v_fmac_f32_e32 v16, 0xbee1c552, v6
	v_fmac_f32_e32 v17, 0xbee1c552, v13
	v_fmac_f32_e32 v19, 0xbee1c552, v13
	v_add_f32_e32 v10, v10, v8
	v_add_f32_e32 v11, v11, v9
	;; [unrolled: 1-line block ×3, first 2 shown]
	v_fmac_f32_e32 v15, 0xbee1c552, v6
	v_fmac_f32_e32 v14, 0xbee1c552, v6
	;; [unrolled: 1-line block ×3, first 2 shown]
	v_add_f32_e32 v4, v17, v20
	v_sub_f32_e32 v5, v21, v16
	v_add_f32_e32 v6, v19, v0
	v_sub_f32_e32 v12, v0, v19
	v_add_nc_u32_e32 v0, 0x800, v51
	v_sub_f32_e32 v7, v1, v14
	v_sub_f32_e32 v8, v10, v18
	v_add_f32_e32 v9, v15, v11
	v_add_f32_e32 v10, v18, v10
	v_sub_f32_e32 v11, v11, v15
	v_add_f32_e32 v13, v14, v1
	v_sub_f32_e32 v14, v20, v17
	v_add_f32_e32 v15, v16, v21
	ds_write2_b64 v51, v[2:3], v[4:5] offset1:77
	ds_write2_b64 v51, v[6:7], v[8:9] offset0:154 offset1:231
	ds_write2_b64 v0, v[10:11], v[12:13] offset0:52 offset1:129
	ds_write_b64 v51, v[14:15] offset:3696
	s_waitcnt lgkmcnt(0)
	s_barrier
	buffer_gl0_inv
	s_and_b32 exec_lo, exec_lo, vcc_lo
	s_cbranch_execz .LBB0_15
; %bb.14:
	s_clause 0x5
	global_load_dwordx2 v[21:22], v48, s[14:15]
	global_load_dwordx2 v[23:24], v48, s[14:15] offset:392
	global_load_dwordx2 v[25:26], v48, s[14:15] offset:784
	;; [unrolled: 1-line block ×5, first 2 shown]
	v_add_co_u32 v1, s0, s14, v48
	v_add_co_ci_u32_e64 v2, null, s15, 0, s0
	v_mad_u64_u32 v[3:4], null, s4, v47, 0
	v_add_co_u32 v1, vcc_lo, 0x800, v1
	v_add_co_ci_u32_e32 v2, vcc_lo, 0, v2, vcc_lo
	v_add_nc_u32_e32 v13, 0x400, v51
	s_clause 0x4
	global_load_dwordx2 v[33:34], v[1:2], off offset:304
	global_load_dwordx2 v[35:36], v[1:2], off offset:696
	;; [unrolled: 1-line block ×5, first 2 shown]
	v_mad_u64_u32 v[1:2], null, s6, v44, 0
	ds_read2_b64 v[13:16], v13 offset0:117 offset1:166
	ds_read2_b64 v[9:12], v0 offset0:87 offset1:136
	;; [unrolled: 1-line block ×3, first 2 shown]
	s_mul_i32 s2, s5, 0x188
	s_mul_hi_u32 s3, s4, 0x188
	s_mulk_i32 s4, 0x188
	v_mad_u64_u32 v[5:6], null, s7, v44, v[2:3]
	ds_read_b64 v[43:44], v51
	s_mov_b32 s0, 0xdbe74d6b
	s_add_i32 s3, s3, s2
	s_mov_b32 s1, 0x3f5e65a3
	v_mad_u64_u32 v[6:7], null, s5, v47, v[4:5]
	v_mov_b32_e32 v2, v5
	v_lshlrev_b64 v[1:2], 3, v[1:2]
	v_mov_b32_e32 v4, v6
	ds_read2_b64 v[5:8], v51 offset0:147 offset1:196
	v_lshlrev_b64 v[3:4], 3, v[3:4]
	v_add_co_u32 v1, vcc_lo, s12, v1
	v_add_co_ci_u32_e32 v2, vcc_lo, s13, v2, vcc_lo
	v_add_co_u32 v45, vcc_lo, v1, v3
	v_add_co_ci_u32_e32 v46, vcc_lo, v2, v4, vcc_lo
	ds_read2_b64 v[1:4], v51 offset0:49 offset1:98
	v_add_co_u32 v47, vcc_lo, v45, s4
	v_add_co_ci_u32_e32 v48, vcc_lo, s3, v46, vcc_lo
	v_add_co_u32 v49, vcc_lo, v47, s4
	v_add_co_ci_u32_e32 v50, vcc_lo, s3, v48, vcc_lo
	;; [unrolled: 2-line block ×7, first 2 shown]
	s_waitcnt vmcnt(10) lgkmcnt(2)
	v_mul_f32_e32 v0, v44, v22
	s_waitcnt vmcnt(9) lgkmcnt(0)
	v_mul_f32_e32 v51, v2, v24
	s_waitcnt vmcnt(8)
	v_mul_f32_e32 v62, v4, v26
	v_mul_f32_e32 v22, v43, v22
	s_waitcnt vmcnt(6)
	v_mul_f32_e32 v64, v8, v30
	v_mul_f32_e32 v30, v7, v30
	;; [unrolled: 1-line block ×5, first 2 shown]
	v_fmac_f32_e32 v51, v1, v23
	v_fma_f32 v8, v29, v8, -v30
	v_mul_f32_e32 v28, v5, v28
	s_waitcnt vmcnt(5)
	v_mul_f32_e32 v65, v14, v32
	v_mul_f32_e32 v32, v13, v32
	v_fmac_f32_e32 v62, v3, v25
	v_fmac_f32_e32 v0, v43, v21
	v_fma_f32 v21, v21, v44, -v22
	v_fma_f32 v22, v23, v2, -v24
	;; [unrolled: 1-line block ×3, first 2 shown]
	v_fmac_f32_e32 v63, v5, v27
	v_fmac_f32_e32 v64, v7, v29
	v_cvt_f64_f32_e32 v[29:30], v8
	s_waitcnt vmcnt(4)
	v_mul_f32_e32 v8, v16, v34
	v_mul_f32_e32 v34, v15, v34
	v_cvt_f64_f32_e32 v[4:5], v51
	s_waitcnt vmcnt(3)
	v_mul_f32_e32 v51, v10, v36
	v_mul_f32_e32 v36, v9, v36
	v_fma_f32 v25, v27, v6, -v28
	v_fmac_f32_e32 v65, v13, v31
	v_fma_f32 v43, v31, v14, -v32
	v_cvt_f64_f32_e32 v[13:14], v62
	s_waitcnt vmcnt(2)
	v_mul_f32_e32 v62, v12, v38
	v_mul_f32_e32 v38, v11, v38
	v_cvt_f64_f32_e32 v[2:3], v21
	v_cvt_f64_f32_e32 v[6:7], v22
	v_cvt_f64_f32_e32 v[21:22], v23
	v_cvt_f64_f32_e32 v[23:24], v63
	s_waitcnt vmcnt(1)
	v_mul_f32_e32 v63, v18, v40
	v_mul_f32_e32 v40, v17, v40
	v_cvt_f64_f32_e32 v[0:1], v0
	v_cvt_f64_f32_e32 v[27:28], v64
	s_waitcnt vmcnt(0)
	v_mul_f32_e32 v64, v20, v42
	v_mul_f32_e32 v42, v19, v42
	v_fmac_f32_e32 v8, v15, v33
	v_fma_f32 v15, v33, v16, -v34
	v_fmac_f32_e32 v51, v9, v35
	v_fma_f32 v33, v35, v10, -v36
	v_cvt_f64_f32_e32 v[25:26], v25
	v_fmac_f32_e32 v62, v11, v37
	v_fma_f32 v12, v37, v12, -v38
	v_fmac_f32_e32 v63, v17, v39
	v_fma_f32 v37, v39, v18, -v40
	v_cvt_f64_f32_e32 v[31:32], v65
	v_cvt_f64_f32_e32 v[43:44], v43
	v_fmac_f32_e32 v64, v19, v41
	v_fma_f32 v41, v41, v20, -v42
	v_cvt_f64_f32_e32 v[8:9], v8
	v_cvt_f64_f32_e32 v[10:11], v15
	;; [unrolled: 1-line block ×10, first 2 shown]
	v_mul_f64 v[0:1], v[0:1], s[0:1]
	v_mul_f64 v[2:3], v[2:3], s[0:1]
	;; [unrolled: 1-line block ×22, first 2 shown]
	v_cvt_f32_f64_e32 v0, v[0:1]
	v_cvt_f32_f64_e32 v1, v[2:3]
	;; [unrolled: 1-line block ×22, first 2 shown]
	v_add_co_u32 v22, vcc_lo, v60, s4
	v_add_co_ci_u32_e32 v23, vcc_lo, s3, v61, vcc_lo
	v_add_co_u32 v24, vcc_lo, v22, s4
	v_add_co_ci_u32_e32 v25, vcc_lo, s3, v23, vcc_lo
	;; [unrolled: 2-line block ×3, first 2 shown]
	global_store_dwordx2 v[45:46], v[0:1], off
	global_store_dwordx2 v[47:48], v[2:3], off
	;; [unrolled: 1-line block ×11, first 2 shown]
.LBB0_15:
	s_endpgm
	.section	.rodata,"a",@progbits
	.p2align	6, 0x0
	.amdhsa_kernel bluestein_single_fwd_len539_dim1_sp_op_CI_CI
		.amdhsa_group_segment_fixed_size 12936
		.amdhsa_private_segment_fixed_size 0
		.amdhsa_kernarg_size 104
		.amdhsa_user_sgpr_count 6
		.amdhsa_user_sgpr_private_segment_buffer 1
		.amdhsa_user_sgpr_dispatch_ptr 0
		.amdhsa_user_sgpr_queue_ptr 0
		.amdhsa_user_sgpr_kernarg_segment_ptr 1
		.amdhsa_user_sgpr_dispatch_id 0
		.amdhsa_user_sgpr_flat_scratch_init 0
		.amdhsa_user_sgpr_private_segment_size 0
		.amdhsa_wavefront_size32 1
		.amdhsa_uses_dynamic_stack 0
		.amdhsa_system_sgpr_private_segment_wavefront_offset 0
		.amdhsa_system_sgpr_workgroup_id_x 1
		.amdhsa_system_sgpr_workgroup_id_y 0
		.amdhsa_system_sgpr_workgroup_id_z 0
		.amdhsa_system_sgpr_workgroup_info 0
		.amdhsa_system_vgpr_workitem_id 0
		.amdhsa_next_free_vgpr 125
		.amdhsa_next_free_sgpr 16
		.amdhsa_reserve_vcc 1
		.amdhsa_reserve_flat_scratch 0
		.amdhsa_float_round_mode_32 0
		.amdhsa_float_round_mode_16_64 0
		.amdhsa_float_denorm_mode_32 3
		.amdhsa_float_denorm_mode_16_64 3
		.amdhsa_dx10_clamp 1
		.amdhsa_ieee_mode 1
		.amdhsa_fp16_overflow 0
		.amdhsa_workgroup_processor_mode 1
		.amdhsa_memory_ordered 1
		.amdhsa_forward_progress 0
		.amdhsa_shared_vgpr_count 0
		.amdhsa_exception_fp_ieee_invalid_op 0
		.amdhsa_exception_fp_denorm_src 0
		.amdhsa_exception_fp_ieee_div_zero 0
		.amdhsa_exception_fp_ieee_overflow 0
		.amdhsa_exception_fp_ieee_underflow 0
		.amdhsa_exception_fp_ieee_inexact 0
		.amdhsa_exception_int_div_zero 0
	.end_amdhsa_kernel
	.text
.Lfunc_end0:
	.size	bluestein_single_fwd_len539_dim1_sp_op_CI_CI, .Lfunc_end0-bluestein_single_fwd_len539_dim1_sp_op_CI_CI
                                        ; -- End function
	.section	.AMDGPU.csdata,"",@progbits
; Kernel info:
; codeLenInByte = 10020
; NumSgprs: 18
; NumVgprs: 125
; ScratchSize: 0
; MemoryBound: 0
; FloatMode: 240
; IeeeMode: 1
; LDSByteSize: 12936 bytes/workgroup (compile time only)
; SGPRBlocks: 2
; VGPRBlocks: 15
; NumSGPRsForWavesPerEU: 18
; NumVGPRsForWavesPerEU: 125
; Occupancy: 8
; WaveLimiterHint : 1
; COMPUTE_PGM_RSRC2:SCRATCH_EN: 0
; COMPUTE_PGM_RSRC2:USER_SGPR: 6
; COMPUTE_PGM_RSRC2:TRAP_HANDLER: 0
; COMPUTE_PGM_RSRC2:TGID_X_EN: 1
; COMPUTE_PGM_RSRC2:TGID_Y_EN: 0
; COMPUTE_PGM_RSRC2:TGID_Z_EN: 0
; COMPUTE_PGM_RSRC2:TIDIG_COMP_CNT: 0
	.text
	.p2alignl 6, 3214868480
	.fill 48, 4, 3214868480
	.type	__hip_cuid_ac4414ec233ee57b,@object ; @__hip_cuid_ac4414ec233ee57b
	.section	.bss,"aw",@nobits
	.globl	__hip_cuid_ac4414ec233ee57b
__hip_cuid_ac4414ec233ee57b:
	.byte	0                               ; 0x0
	.size	__hip_cuid_ac4414ec233ee57b, 1

	.ident	"AMD clang version 19.0.0git (https://github.com/RadeonOpenCompute/llvm-project roc-6.4.0 25133 c7fe45cf4b819c5991fe208aaa96edf142730f1d)"
	.section	".note.GNU-stack","",@progbits
	.addrsig
	.addrsig_sym __hip_cuid_ac4414ec233ee57b
	.amdgpu_metadata
---
amdhsa.kernels:
  - .args:
      - .actual_access:  read_only
        .address_space:  global
        .offset:         0
        .size:           8
        .value_kind:     global_buffer
      - .actual_access:  read_only
        .address_space:  global
        .offset:         8
        .size:           8
        .value_kind:     global_buffer
      - .actual_access:  read_only
        .address_space:  global
        .offset:         16
        .size:           8
        .value_kind:     global_buffer
      - .actual_access:  read_only
        .address_space:  global
        .offset:         24
        .size:           8
        .value_kind:     global_buffer
      - .actual_access:  read_only
        .address_space:  global
        .offset:         32
        .size:           8
        .value_kind:     global_buffer
      - .offset:         40
        .size:           8
        .value_kind:     by_value
      - .address_space:  global
        .offset:         48
        .size:           8
        .value_kind:     global_buffer
      - .address_space:  global
        .offset:         56
        .size:           8
        .value_kind:     global_buffer
      - .address_space:  global
        .offset:         64
        .size:           8
        .value_kind:     global_buffer
      - .address_space:  global
        .offset:         72
        .size:           8
        .value_kind:     global_buffer
      - .offset:         80
        .size:           4
        .value_kind:     by_value
      - .address_space:  global
        .offset:         88
        .size:           8
        .value_kind:     global_buffer
      - .address_space:  global
        .offset:         96
        .size:           8
        .value_kind:     global_buffer
    .group_segment_fixed_size: 12936
    .kernarg_segment_align: 8
    .kernarg_segment_size: 104
    .language:       OpenCL C
    .language_version:
      - 2
      - 0
    .max_flat_workgroup_size: 231
    .name:           bluestein_single_fwd_len539_dim1_sp_op_CI_CI
    .private_segment_fixed_size: 0
    .sgpr_count:     18
    .sgpr_spill_count: 0
    .symbol:         bluestein_single_fwd_len539_dim1_sp_op_CI_CI.kd
    .uniform_work_group_size: 1
    .uses_dynamic_stack: false
    .vgpr_count:     125
    .vgpr_spill_count: 0
    .wavefront_size: 32
    .workgroup_processor_mode: 1
amdhsa.target:   amdgcn-amd-amdhsa--gfx1030
amdhsa.version:
  - 1
  - 2
...

	.end_amdgpu_metadata
